;; amdgpu-corpus repo=ROCm/rocFFT kind=compiled arch=gfx906 opt=O3
	.text
	.amdgcn_target "amdgcn-amd-amdhsa--gfx906"
	.amdhsa_code_object_version 6
	.protected	fft_rtc_back_len1089_factors_3_11_3_11_wgs_121_tpt_121_sp_ip_CI_sbrr_dirReg ; -- Begin function fft_rtc_back_len1089_factors_3_11_3_11_wgs_121_tpt_121_sp_ip_CI_sbrr_dirReg
	.globl	fft_rtc_back_len1089_factors_3_11_3_11_wgs_121_tpt_121_sp_ip_CI_sbrr_dirReg
	.p2align	8
	.type	fft_rtc_back_len1089_factors_3_11_3_11_wgs_121_tpt_121_sp_ip_CI_sbrr_dirReg,@function
fft_rtc_back_len1089_factors_3_11_3_11_wgs_121_tpt_121_sp_ip_CI_sbrr_dirReg: ; @fft_rtc_back_len1089_factors_3_11_3_11_wgs_121_tpt_121_sp_ip_CI_sbrr_dirReg
; %bb.0:
	s_load_dwordx2 s[14:15], s[4:5], 0x18
	s_load_dwordx4 s[8:11], s[4:5], 0x0
	s_load_dwordx2 s[12:13], s[4:5], 0x50
	v_mul_u32_u24_e32 v1, 0x21e, v0
	v_add_u32_sdwa v5, s6, v1 dst_sel:DWORD dst_unused:UNUSED_PAD src0_sel:DWORD src1_sel:WORD_1
	s_waitcnt lgkmcnt(0)
	s_load_dwordx2 s[2:3], s[14:15], 0x0
	v_cmp_lt_u64_e64 s[0:1], s[10:11], 2
	v_mov_b32_e32 v3, 0
	v_mov_b32_e32 v1, 0
	;; [unrolled: 1-line block ×3, first 2 shown]
	s_and_b64 vcc, exec, s[0:1]
	v_mov_b32_e32 v2, 0
	s_cbranch_vccnz .LBB0_8
; %bb.1:
	s_load_dwordx2 s[0:1], s[4:5], 0x10
	s_add_u32 s6, s14, 8
	s_addc_u32 s7, s15, 0
	v_mov_b32_e32 v1, 0
	v_mov_b32_e32 v2, 0
	s_waitcnt lgkmcnt(0)
	s_add_u32 s16, s0, 8
	s_addc_u32 s17, s1, 0
	s_mov_b64 s[18:19], 1
.LBB0_2:                                ; =>This Inner Loop Header: Depth=1
	s_load_dwordx2 s[20:21], s[16:17], 0x0
                                        ; implicit-def: $vgpr7_vgpr8
	s_waitcnt lgkmcnt(0)
	v_or_b32_e32 v4, s21, v6
	v_cmp_ne_u64_e32 vcc, 0, v[3:4]
	s_and_saveexec_b64 s[0:1], vcc
	s_xor_b64 s[22:23], exec, s[0:1]
	s_cbranch_execz .LBB0_4
; %bb.3:                                ;   in Loop: Header=BB0_2 Depth=1
	v_cvt_f32_u32_e32 v4, s20
	v_cvt_f32_u32_e32 v7, s21
	s_sub_u32 s0, 0, s20
	s_subb_u32 s1, 0, s21
	v_mac_f32_e32 v4, 0x4f800000, v7
	v_rcp_f32_e32 v4, v4
	v_mul_f32_e32 v4, 0x5f7ffffc, v4
	v_mul_f32_e32 v7, 0x2f800000, v4
	v_trunc_f32_e32 v7, v7
	v_mac_f32_e32 v4, 0xcf800000, v7
	v_cvt_u32_f32_e32 v7, v7
	v_cvt_u32_f32_e32 v4, v4
	v_mul_lo_u32 v8, s0, v7
	v_mul_hi_u32 v9, s0, v4
	v_mul_lo_u32 v11, s1, v4
	v_mul_lo_u32 v10, s0, v4
	v_add_u32_e32 v8, v9, v8
	v_add_u32_e32 v8, v8, v11
	v_mul_hi_u32 v9, v4, v10
	v_mul_lo_u32 v11, v4, v8
	v_mul_hi_u32 v13, v4, v8
	v_mul_hi_u32 v12, v7, v10
	v_mul_lo_u32 v10, v7, v10
	v_mul_hi_u32 v14, v7, v8
	v_add_co_u32_e32 v9, vcc, v9, v11
	v_addc_co_u32_e32 v11, vcc, 0, v13, vcc
	v_mul_lo_u32 v8, v7, v8
	v_add_co_u32_e32 v9, vcc, v9, v10
	v_addc_co_u32_e32 v9, vcc, v11, v12, vcc
	v_addc_co_u32_e32 v10, vcc, 0, v14, vcc
	v_add_co_u32_e32 v8, vcc, v9, v8
	v_addc_co_u32_e32 v9, vcc, 0, v10, vcc
	v_add_co_u32_e32 v4, vcc, v4, v8
	v_addc_co_u32_e32 v7, vcc, v7, v9, vcc
	v_mul_lo_u32 v8, s0, v7
	v_mul_hi_u32 v9, s0, v4
	v_mul_lo_u32 v10, s1, v4
	v_mul_lo_u32 v11, s0, v4
	v_add_u32_e32 v8, v9, v8
	v_add_u32_e32 v8, v8, v10
	v_mul_lo_u32 v12, v4, v8
	v_mul_hi_u32 v13, v4, v11
	v_mul_hi_u32 v14, v4, v8
	;; [unrolled: 1-line block ×3, first 2 shown]
	v_mul_lo_u32 v11, v7, v11
	v_mul_hi_u32 v9, v7, v8
	v_add_co_u32_e32 v12, vcc, v13, v12
	v_addc_co_u32_e32 v13, vcc, 0, v14, vcc
	v_mul_lo_u32 v8, v7, v8
	v_add_co_u32_e32 v11, vcc, v12, v11
	v_addc_co_u32_e32 v10, vcc, v13, v10, vcc
	v_addc_co_u32_e32 v9, vcc, 0, v9, vcc
	v_add_co_u32_e32 v8, vcc, v10, v8
	v_addc_co_u32_e32 v9, vcc, 0, v9, vcc
	v_add_co_u32_e32 v4, vcc, v4, v8
	v_addc_co_u32_e32 v9, vcc, v7, v9, vcc
	v_mad_u64_u32 v[7:8], s[0:1], v5, v9, 0
	v_mul_hi_u32 v10, v5, v4
	v_add_co_u32_e32 v11, vcc, v10, v7
	v_addc_co_u32_e32 v12, vcc, 0, v8, vcc
	v_mad_u64_u32 v[7:8], s[0:1], v6, v4, 0
	v_mad_u64_u32 v[9:10], s[0:1], v6, v9, 0
	v_add_co_u32_e32 v4, vcc, v11, v7
	v_addc_co_u32_e32 v4, vcc, v12, v8, vcc
	v_addc_co_u32_e32 v7, vcc, 0, v10, vcc
	v_add_co_u32_e32 v4, vcc, v4, v9
	v_addc_co_u32_e32 v9, vcc, 0, v7, vcc
	v_mul_lo_u32 v10, s21, v4
	v_mul_lo_u32 v11, s20, v9
	v_mad_u64_u32 v[7:8], s[0:1], s20, v4, 0
	v_add3_u32 v8, v8, v11, v10
	v_sub_u32_e32 v10, v6, v8
	v_mov_b32_e32 v11, s21
	v_sub_co_u32_e32 v7, vcc, v5, v7
	v_subb_co_u32_e64 v10, s[0:1], v10, v11, vcc
	v_subrev_co_u32_e64 v11, s[0:1], s20, v7
	v_subbrev_co_u32_e64 v10, s[0:1], 0, v10, s[0:1]
	v_cmp_le_u32_e64 s[0:1], s21, v10
	v_cndmask_b32_e64 v12, 0, -1, s[0:1]
	v_cmp_le_u32_e64 s[0:1], s20, v11
	v_cndmask_b32_e64 v11, 0, -1, s[0:1]
	v_cmp_eq_u32_e64 s[0:1], s21, v10
	v_cndmask_b32_e64 v10, v12, v11, s[0:1]
	v_add_co_u32_e64 v11, s[0:1], 2, v4
	v_addc_co_u32_e64 v12, s[0:1], 0, v9, s[0:1]
	v_add_co_u32_e64 v13, s[0:1], 1, v4
	v_addc_co_u32_e64 v14, s[0:1], 0, v9, s[0:1]
	v_subb_co_u32_e32 v8, vcc, v6, v8, vcc
	v_cmp_ne_u32_e64 s[0:1], 0, v10
	v_cmp_le_u32_e32 vcc, s21, v8
	v_cndmask_b32_e64 v10, v14, v12, s[0:1]
	v_cndmask_b32_e64 v12, 0, -1, vcc
	v_cmp_le_u32_e32 vcc, s20, v7
	v_cndmask_b32_e64 v7, 0, -1, vcc
	v_cmp_eq_u32_e32 vcc, s21, v8
	v_cndmask_b32_e32 v7, v12, v7, vcc
	v_cmp_ne_u32_e32 vcc, 0, v7
	v_cndmask_b32_e64 v7, v13, v11, s[0:1]
	v_cndmask_b32_e32 v8, v9, v10, vcc
	v_cndmask_b32_e32 v7, v4, v7, vcc
.LBB0_4:                                ;   in Loop: Header=BB0_2 Depth=1
	s_andn2_saveexec_b64 s[0:1], s[22:23]
	s_cbranch_execz .LBB0_6
; %bb.5:                                ;   in Loop: Header=BB0_2 Depth=1
	v_cvt_f32_u32_e32 v4, s20
	s_sub_i32 s22, 0, s20
	v_rcp_iflag_f32_e32 v4, v4
	v_mul_f32_e32 v4, 0x4f7ffffe, v4
	v_cvt_u32_f32_e32 v4, v4
	v_mul_lo_u32 v7, s22, v4
	v_mul_hi_u32 v7, v4, v7
	v_add_u32_e32 v4, v4, v7
	v_mul_hi_u32 v4, v5, v4
	v_mul_lo_u32 v7, v4, s20
	v_add_u32_e32 v8, 1, v4
	v_sub_u32_e32 v7, v5, v7
	v_subrev_u32_e32 v9, s20, v7
	v_cmp_le_u32_e32 vcc, s20, v7
	v_cndmask_b32_e32 v7, v7, v9, vcc
	v_cndmask_b32_e32 v4, v4, v8, vcc
	v_add_u32_e32 v8, 1, v4
	v_cmp_le_u32_e32 vcc, s20, v7
	v_cndmask_b32_e32 v7, v4, v8, vcc
	v_mov_b32_e32 v8, v3
.LBB0_6:                                ;   in Loop: Header=BB0_2 Depth=1
	s_or_b64 exec, exec, s[0:1]
	v_mul_lo_u32 v4, v8, s20
	v_mul_lo_u32 v11, v7, s21
	v_mad_u64_u32 v[9:10], s[0:1], v7, s20, 0
	s_load_dwordx2 s[0:1], s[6:7], 0x0
	s_add_u32 s18, s18, 1
	v_add3_u32 v4, v10, v11, v4
	v_sub_co_u32_e32 v5, vcc, v5, v9
	v_subb_co_u32_e32 v4, vcc, v6, v4, vcc
	s_waitcnt lgkmcnt(0)
	v_mul_lo_u32 v4, s0, v4
	v_mul_lo_u32 v6, s1, v5
	v_mad_u64_u32 v[1:2], s[0:1], s0, v5, v[1:2]
	s_addc_u32 s19, s19, 0
	s_add_u32 s6, s6, 8
	v_add3_u32 v2, v6, v2, v4
	v_mov_b32_e32 v4, s10
	v_mov_b32_e32 v5, s11
	s_addc_u32 s7, s7, 0
	v_cmp_ge_u64_e32 vcc, s[18:19], v[4:5]
	s_add_u32 s16, s16, 8
	s_addc_u32 s17, s17, 0
	s_cbranch_vccnz .LBB0_9
; %bb.7:                                ;   in Loop: Header=BB0_2 Depth=1
	v_mov_b32_e32 v5, v7
	v_mov_b32_e32 v6, v8
	s_branch .LBB0_2
.LBB0_8:
	v_mov_b32_e32 v8, v6
	v_mov_b32_e32 v7, v5
.LBB0_9:
	s_lshl_b64 s[0:1], s[10:11], 3
	s_add_u32 s0, s14, s0
	s_addc_u32 s1, s15, s1
	s_load_dwordx2 s[6:7], s[0:1], 0x0
	s_load_dwordx2 s[10:11], s[4:5], 0x20
                                        ; implicit-def: $vgpr25
                                        ; implicit-def: $vgpr26
	s_waitcnt lgkmcnt(0)
	v_mad_u64_u32 v[1:2], s[0:1], s6, v7, v[1:2]
	s_mov_b32 s0, 0x21d9eae
	v_mul_lo_u32 v3, s6, v8
	v_mul_lo_u32 v4, s7, v7
	v_mul_hi_u32 v5, v0, s0
	v_cmp_gt_u64_e32 vcc, s[10:11], v[7:8]
	v_cmp_le_u64_e64 s[0:1], s[10:11], v[7:8]
	v_add3_u32 v2, v4, v2, v3
	v_mul_u32_u24_e32 v3, 0x79, v5
	v_sub_u32_e32 v24, v0, v3
	s_and_saveexec_b64 s[4:5], s[0:1]
	s_xor_b64 s[0:1], exec, s[4:5]
; %bb.10:
	v_add_u32_e32 v25, 0x79, v24
	v_add_u32_e32 v26, 0xf2, v24
; %bb.11:
	s_or_saveexec_b64 s[4:5], s[0:1]
	v_lshlrev_b64 v[20:21], 3, v[1:2]
                                        ; implicit-def: $vgpr5
                                        ; implicit-def: $vgpr7
                                        ; implicit-def: $vgpr19
                                        ; implicit-def: $vgpr15
                                        ; implicit-def: $vgpr13
                                        ; implicit-def: $vgpr17
                                        ; implicit-def: $vgpr11
                                        ; implicit-def: $vgpr3
                                        ; implicit-def: $vgpr9
	s_xor_b64 exec, exec, s[4:5]
	s_cbranch_execz .LBB0_13
; %bb.12:
	v_mad_u64_u32 v[0:1], s[0:1], s2, v24, 0
	v_add_u32_e32 v5, 0x16b, v24
	v_mov_b32_e32 v4, s13
	v_mad_u64_u32 v[1:2], s[0:1], s3, v24, v[1:2]
	v_mad_u64_u32 v[2:3], s[0:1], s2, v5, 0
	v_add_co_u32_e64 v33, s[0:1], s12, v20
	v_addc_co_u32_e64 v34, s[0:1], v4, v21, s[0:1]
	v_mad_u64_u32 v[3:4], s[0:1], s3, v5, v[3:4]
	v_add_u32_e32 v6, 0x2d6, v24
	v_mad_u64_u32 v[4:5], s[0:1], s2, v6, 0
	v_lshlrev_b64 v[0:1], 3, v[0:1]
	v_add_u32_e32 v25, 0x79, v24
	v_add_co_u32_e64 v0, s[0:1], v33, v0
	v_addc_co_u32_e64 v1, s[0:1], v34, v1, s[0:1]
	v_mad_u64_u32 v[5:6], s[0:1], s3, v6, v[5:6]
	v_mad_u64_u32 v[6:7], s[0:1], s2, v25, 0
	v_lshlrev_b64 v[2:3], 3, v[2:3]
	v_add_u32_e32 v26, 0xf2, v24
	v_add_co_u32_e64 v22, s[0:1], v33, v2
	v_addc_co_u32_e64 v23, s[0:1], v34, v3, s[0:1]
	v_lshlrev_b64 v[2:3], 3, v[4:5]
	v_mov_b32_e32 v4, v7
	v_mad_u64_u32 v[4:5], s[0:1], s3, v25, v[4:5]
	v_add_u32_e32 v5, 0x1e4, v24
	v_mad_u64_u32 v[8:9], s[0:1], s2, v5, 0
	v_add_co_u32_e64 v27, s[0:1], v33, v2
	v_mov_b32_e32 v7, v4
	v_mov_b32_e32 v4, v9
	v_addc_co_u32_e64 v28, s[0:1], v34, v3, s[0:1]
	v_lshlrev_b64 v[2:3], 3, v[6:7]
	v_mad_u64_u32 v[4:5], s[0:1], s3, v5, v[4:5]
	v_add_u32_e32 v7, 0x34f, v24
	v_mad_u64_u32 v[5:6], s[0:1], s2, v7, 0
	v_add_co_u32_e64 v29, s[0:1], v33, v2
	v_mov_b32_e32 v9, v4
	v_mov_b32_e32 v4, v6
	v_addc_co_u32_e64 v30, s[0:1], v34, v3, s[0:1]
	v_mad_u64_u32 v[6:7], s[0:1], s3, v7, v[4:5]
	v_lshlrev_b64 v[2:3], 3, v[8:9]
	v_mad_u64_u32 v[7:8], s[0:1], s2, v26, 0
	v_add_co_u32_e64 v10, s[0:1], v33, v2
	v_mov_b32_e32 v4, v8
	v_addc_co_u32_e64 v11, s[0:1], v34, v3, s[0:1]
	v_lshlrev_b64 v[2:3], 3, v[5:6]
	v_mad_u64_u32 v[4:5], s[0:1], s3, v26, v[4:5]
	v_add_u32_e32 v9, 0x25d, v24
	v_mad_u64_u32 v[5:6], s[0:1], s2, v9, 0
	v_add_co_u32_e64 v14, s[0:1], v33, v2
	v_mov_b32_e32 v8, v4
	v_mov_b32_e32 v4, v6
	v_addc_co_u32_e64 v15, s[0:1], v34, v3, s[0:1]
	v_lshlrev_b64 v[2:3], 3, v[7:8]
	v_mad_u64_u32 v[6:7], s[0:1], s3, v9, v[4:5]
	v_add_u32_e32 v7, 0x3c8, v24
	v_mad_u64_u32 v[18:19], s[0:1], s2, v7, 0
	v_add_co_u32_e64 v31, s[0:1], v33, v2
	v_mov_b32_e32 v4, v19
	v_addc_co_u32_e64 v32, s[0:1], v34, v3, s[0:1]
	v_lshlrev_b64 v[2:3], 3, v[5:6]
	v_mad_u64_u32 v[4:5], s[0:1], s3, v7, v[4:5]
	v_add_co_u32_e64 v5, s[0:1], v33, v2
	v_mov_b32_e32 v19, v4
	v_addc_co_u32_e64 v6, s[0:1], v34, v3, s[0:1]
	global_load_dwordx2 v[12:13], v[10:11], off
	global_load_dwordx2 v[16:17], v[14:15], off
	;; [unrolled: 1-line block ×4, first 2 shown]
	v_lshlrev_b64 v[4:5], 3, v[18:19]
	v_add_co_u32_e64 v31, s[0:1], v33, v4
	v_addc_co_u32_e64 v32, s[0:1], v34, v5, s[0:1]
	global_load_dwordx2 v[10:11], v[31:32], off
	global_load_dwordx2 v[4:5], v[0:1], off
	;; [unrolled: 1-line block ×5, first 2 shown]
.LBB0_13:
	s_or_b64 exec, exec, s[4:5]
	s_waitcnt vmcnt(2)
	v_add_f32_e32 v1, v5, v7
	s_waitcnt vmcnt(1)
	v_add_f32_e32 v1, v1, v19
	v_sub_f32_e32 v23, v7, v19
	v_add_f32_e32 v19, v7, v19
	s_waitcnt vmcnt(0)
	v_add_f32_e32 v7, v15, v13
	v_add_f32_e32 v7, v7, v17
	v_sub_f32_e32 v28, v13, v17
	v_add_f32_e32 v13, v13, v17
	v_add_f32_e32 v17, v3, v9
	;; [unrolled: 1-line block ×6, first 2 shown]
	v_sub_f32_e32 v31, v3, v11
	v_add_f32_e32 v11, v11, v3
	v_add_f32_e32 v0, v0, v18
	v_sub_f32_e32 v18, v6, v18
	v_add_f32_e32 v6, v14, v12
	v_sub_f32_e32 v29, v12, v16
	v_add_f32_e32 v12, v2, v8
	v_add_f32_e32 v30, v10, v2
	v_fmac_f32_e32 v4, -0.5, v22
	v_fmac_f32_e32 v5, -0.5, v19
	;; [unrolled: 1-line block ×5, first 2 shown]
	v_add_f32_e32 v6, v6, v16
	v_add_f32_e32 v16, v10, v12
	v_sub_f32_e32 v10, v2, v10
	v_mov_b32_e32 v2, v4
	v_mov_b32_e32 v3, v5
	;; [unrolled: 1-line block ×4, first 2 shown]
	v_fmac_f32_e32 v8, -0.5, v30
	v_mov_b32_e32 v19, v9
	v_fmac_f32_e32 v2, 0xbf5db3d7, v23
	v_fmac_f32_e32 v3, 0x3f5db3d7, v18
	;; [unrolled: 1-line block ×5, first 2 shown]
	v_mov_b32_e32 v18, v8
	v_fmac_f32_e32 v19, 0x3f5db3d7, v10
	v_fmac_f32_e32 v9, 0xbf5db3d7, v10
	v_mad_u32_u24 v10, v24, 24, 0
	v_mad_i32_i24 v11, v25, 24, 0
	s_movk_i32 s0, 0x63
	v_fmac_f32_e32 v4, 0x3f5db3d7, v23
	v_fmac_f32_e32 v14, 0x3f5db3d7, v28
	;; [unrolled: 1-line block ×5, first 2 shown]
	ds_write2_b64 v10, v[0:1], v[2:3] offset1:1
	ds_write_b64 v10, v[4:5] offset:16
	ds_write2_b64 v11, v[6:7], v[12:13] offset1:1
	ds_write_b64 v11, v[14:15] offset:16
	v_mad_i32_i24 v11, v26, 24, 0
	v_cmp_gt_u32_e64 s[0:1], s0, v24
	ds_write2_b64 v11, v[16:17], v[18:19] offset1:1
	ds_write_b64 v11, v[8:9] offset:16
	s_waitcnt lgkmcnt(0)
	s_barrier
	s_waitcnt lgkmcnt(0)
                                        ; implicit-def: $vgpr23
	s_and_saveexec_b64 s[4:5], s[0:1]
	s_cbranch_execz .LBB0_15
; %bb.14:
	v_lshlrev_b32_e32 v0, 4, v24
	v_sub_u32_e32 v22, v10, v0
	v_add_u32_e32 v8, 0x800, v22
	ds_read2_b64 v[12:15], v8 offset0:140 offset1:239
	v_add_u32_e32 v8, 0x1000, v22
	v_add_u32_e32 v4, 0x400, v22
	ds_read2_b64 v[16:19], v8 offset0:82 offset1:181
	v_add_u32_e32 v8, 0x1800, v22
	ds_read2_b64 v[0:3], v22 offset1:99
	ds_read2_b64 v[4:7], v4 offset0:70 offset1:169
	ds_read2_b64 v[8:11], v8 offset0:24 offset1:123
	ds_read_b64 v[22:23], v22 offset:7920
.LBB0_15:
	s_or_b64 exec, exec, s[4:5]
	s_movk_i32 s4, 0xab
	v_mul_lo_u16_sdwa v27, v24, s4 dst_sel:DWORD dst_unused:UNUSED_PAD src0_sel:BYTE_0 src1_sel:DWORD
	v_lshrrev_b16_e32 v27, 9, v27
	v_mul_lo_u16_e32 v28, 3, v27
	v_sub_u16_e32 v28, v24, v28
	v_mov_b32_e32 v29, 10
	v_mul_u32_u24_sdwa v29, v28, v29 dst_sel:DWORD dst_unused:UNUSED_PAD src0_sel:BYTE_0 src1_sel:DWORD
	v_lshlrev_b32_e32 v29, 3, v29
	global_load_dwordx4 v[39:42], v29, s[8:9] offset:16
	global_load_dwordx4 v[43:46], v29, s[8:9] offset:32
	;; [unrolled: 1-line block ×4, first 2 shown]
	global_load_dwordx4 v[55:58], v29, s[8:9]
	s_mov_b32 s6, 0x3f575c64
	s_mov_b32 s7, 0x3ed4b147
	;; [unrolled: 1-line block ×5, first 2 shown]
	s_waitcnt vmcnt(0) lgkmcnt(0)
	s_barrier
	v_mul_f32_e32 v30, v13, v42
	v_mul_f32_e32 v42, v12, v42
	v_mul_f32_e32 v31, v15, v44
	v_mul_f32_e32 v44, v14, v44
	v_mul_f32_e32 v32, v17, v46
	v_mul_f32_e32 v46, v16, v46
	v_mul_f32_e32 v36, v23, v54
	v_mul_f32_e32 v54, v22, v54
	v_mul_f32_e32 v38, v3, v56
	v_mul_f32_e32 v56, v2, v56
	v_mul_f32_e32 v33, v19, v48
	v_mul_f32_e32 v48, v18, v48
	v_mul_f32_e32 v35, v11, v52
	v_mul_f32_e32 v52, v10, v52
	v_mul_f32_e32 v37, v5, v58
	v_mul_f32_e32 v58, v4, v58
	v_fma_f32 v13, v13, v41, -v42
	v_fmac_f32_e32 v31, v14, v43
	v_fma_f32 v14, v15, v43, -v44
	v_fma_f32 v15, v17, v45, -v46
	;; [unrolled: 1-line block ×4, first 2 shown]
	v_mul_f32_e32 v29, v7, v40
	v_mul_f32_e32 v40, v6, v40
	;; [unrolled: 1-line block ×4, first 2 shown]
	v_fmac_f32_e32 v30, v12, v41
	v_fmac_f32_e32 v32, v16, v45
	v_fma_f32 v16, v19, v47, -v48
	v_fma_f32 v19, v11, v51, -v52
	v_fmac_f32_e32 v36, v22, v53
	v_fma_f32 v41, v5, v57, -v58
	v_fmac_f32_e32 v38, v2, v55
	v_sub_f32_e32 v53, v42, v17
	v_add_f32_e32 v59, v42, v17
	v_fmac_f32_e32 v29, v6, v39
	v_fma_f32 v39, v7, v39, -v40
	v_fmac_f32_e32 v33, v18, v47
	v_fmac_f32_e32 v34, v8, v49
	v_fma_f32 v18, v9, v49, -v50
	v_fmac_f32_e32 v35, v10, v51
	v_fmac_f32_e32 v37, v4, v57
	v_add_f32_e32 v4, v38, v36
	v_sub_f32_e32 v52, v41, v19
	v_add_f32_e32 v57, v41, v19
	v_mul_f32_e32 v46, 0xbf0a6770, v53
	v_mul_f32_e32 v49, 0x3f575c64, v59
	v_add_f32_e32 v5, v37, v35
	v_sub_f32_e32 v9, v38, v36
	v_add_f32_e32 v58, v39, v18
	v_mul_f32_e32 v45, 0xbf68dda4, v52
	v_mul_f32_e32 v48, 0x3ed4b147, v57
	v_fma_f32 v2, v4, s6, -v46
	v_mov_b32_e32 v11, v49
	v_sub_f32_e32 v8, v37, v35
	v_add_f32_e32 v60, v13, v16
	v_mul_f32_e32 v47, 0xbe11bafb, v58
	v_fma_f32 v3, v5, s7, -v45
	v_mov_b32_e32 v12, v48
	v_add_f32_e32 v2, v0, v2
	v_fmac_f32_e32 v11, 0xbf0a6770, v9
	v_sub_f32_e32 v54, v39, v18
	v_sub_f32_e32 v10, v29, v34
	v_mov_b32_e32 v23, v47
	v_fmac_f32_e32 v12, 0xbf68dda4, v8
	v_add_f32_e32 v2, v3, v2
	v_add_f32_e32 v3, v1, v11
	v_mul_f32_e32 v51, 0xbf27a4f4, v60
	v_add_f32_e32 v6, v29, v34
	v_sub_f32_e32 v56, v13, v16
	v_mul_f32_e32 v44, 0xbf7d64f0, v54
	v_fmac_f32_e32 v23, 0xbf7d64f0, v10
	v_add_f32_e32 v3, v12, v3
	v_sub_f32_e32 v11, v30, v33
	v_mov_b32_e32 v12, v51
	v_add_f32_e32 v7, v30, v33
	v_mul_f32_e32 v43, 0xbf4178ce, v56
	v_fma_f32 v22, v6, s10, -v44
	v_add_f32_e32 v3, v23, v3
	v_fmac_f32_e32 v12, 0xbf4178ce, v11
	v_sub_f32_e32 v64, v14, v15
	v_fma_f32 v40, v7, s11, -v43
	v_add_f32_e32 v2, v22, v2
	v_add_f32_e32 v3, v12, v3
	;; [unrolled: 1-line block ×3, first 2 shown]
	v_mul_f32_e32 v50, 0xbe903f40, v64
	v_add_f32_e32 v66, v14, v15
	v_add_f32_e32 v2, v40, v2
	v_fma_f32 v22, v12, s14, -v50
	v_mul_f32_e32 v55, 0xbf75a155, v66
	v_add_f32_e32 v22, v22, v2
	v_sub_f32_e32 v40, v31, v32
	v_mov_b32_e32 v2, v55
	v_fmac_f32_e32 v2, 0xbe903f40, v40
	v_mul_f32_e32 v61, 0xbf68dda4, v53
	v_add_f32_e32 v23, v2, v3
	v_fma_f32 v2, v4, s7, -v61
	v_mul_f32_e32 v62, 0xbf4178ce, v52
	v_add_f32_e32 v2, v0, v2
	v_fma_f32 v3, v5, s11, -v62
	v_mul_f32_e32 v68, 0x3ed4b147, v59
	v_add_f32_e32 v2, v3, v2
	v_mov_b32_e32 v3, v68
	v_mul_f32_e32 v69, 0xbf27a4f4, v57
	v_fmac_f32_e32 v3, 0xbf68dda4, v9
	v_mov_b32_e32 v63, v69
	v_add_f32_e32 v3, v1, v3
	v_fmac_f32_e32 v63, 0xbf4178ce, v8
	v_add_f32_e32 v3, v63, v3
	v_mul_f32_e32 v63, 0x3e903f40, v54
	v_fma_f32 v65, v6, s14, -v63
	v_mul_f32_e32 v70, 0xbf75a155, v58
	v_add_f32_e32 v2, v65, v2
	v_mov_b32_e32 v65, v70
	v_fmac_f32_e32 v65, 0x3e903f40, v10
	v_add_f32_e32 v3, v65, v3
	v_mul_f32_e32 v65, 0x3f7d64f0, v56
	v_fma_f32 v67, v7, s10, -v65
	v_mul_f32_e32 v71, 0xbe11bafb, v60
	v_add_f32_e32 v2, v67, v2
	v_mov_b32_e32 v67, v71
	v_fmac_f32_e32 v67, 0x3f7d64f0, v11
	v_mul_f32_e32 v72, 0x3f575c64, v66
	v_add_f32_e32 v3, v67, v3
	v_mov_b32_e32 v73, v72
	v_mul_f32_e32 v67, 0x3f0a6770, v64
	v_fmac_f32_e32 v73, 0x3f0a6770, v40
	v_fma_f32 v74, v12, s6, -v67
	v_add_f32_e32 v2, v74, v2
	v_add_f32_e32 v3, v73, v3
	s_and_saveexec_b64 s[4:5], s[0:1]
	s_cbranch_execz .LBB0_17
; %bb.16:
	v_mul_f32_e32 v77, 0xbf75a155, v59
	v_mov_b32_e32 v73, v77
	v_mul_f32_e32 v78, 0x3f575c64, v57
	v_fmac_f32_e32 v73, 0x3e903f40, v9
	v_mov_b32_e32 v74, v78
	v_add_f32_e32 v73, v1, v73
	v_fmac_f32_e32 v74, 0xbf0a6770, v8
	v_mul_f32_e32 v79, 0xbf27a4f4, v58
	v_add_f32_e32 v73, v74, v73
	v_mov_b32_e32 v74, v79
	v_fmac_f32_e32 v74, 0x3f4178ce, v10
	v_mul_f32_e32 v80, 0x3ed4b147, v60
	v_add_f32_e32 v73, v74, v73
	v_mov_b32_e32 v74, v80
	;; [unrolled: 4-line block ×3, first 2 shown]
	v_mul_f32_e32 v82, 0x3f0a6770, v52
	v_fmac_f32_e32 v74, 0xbf75a155, v4
	v_mov_b32_e32 v75, v82
	v_add_f32_e32 v74, v0, v74
	v_fmac_f32_e32 v75, 0x3f575c64, v5
	v_mul_f32_e32 v83, 0xbf4178ce, v54
	v_add_f32_e32 v74, v75, v74
	v_mov_b32_e32 v75, v83
	v_fmac_f32_e32 v75, 0xbf27a4f4, v6
	v_mul_f32_e32 v84, 0x3f68dda4, v56
	v_add_f32_e32 v74, v75, v74
	v_mov_b32_e32 v75, v84
	;; [unrolled: 4-line block ×5, first 2 shown]
	v_mul_f32_e32 v88, 0xbe11bafb, v57
	v_fmac_f32_e32 v75, 0x3f4178ce, v9
	v_mov_b32_e32 v76, v88
	v_add_f32_e32 v75, v1, v75
	v_fmac_f32_e32 v76, 0xbf7d64f0, v8
	v_mul_f32_e32 v89, 0x3f575c64, v58
	v_add_f32_e32 v75, v76, v75
	v_mov_b32_e32 v76, v89
	v_fmac_f32_e32 v76, 0x3f0a6770, v10
	v_mul_f32_e32 v90, 0xbf75a155, v60
	v_add_f32_e32 v75, v76, v75
	v_mov_b32_e32 v76, v90
	;; [unrolled: 4-line block ×3, first 2 shown]
	v_mul_f32_e32 v92, 0x3f7d64f0, v52
	v_fmac_f32_e32 v76, 0xbf27a4f4, v4
	v_mov_b32_e32 v93, v92
	v_add_f32_e32 v76, v0, v76
	v_fmac_f32_e32 v93, 0xbe11bafb, v5
	v_add_f32_e32 v76, v93, v76
	v_mul_f32_e32 v93, 0xbf0a6770, v54
	v_mov_b32_e32 v94, v93
	v_fmac_f32_e32 v94, 0x3f575c64, v6
	v_add_f32_e32 v76, v94, v76
	v_mul_f32_e32 v94, 0xbe903f40, v56
	v_mov_b32_e32 v95, v94
	v_fmac_f32_e32 v95, 0xbf75a155, v7
	v_mul_f32_e32 v96, 0x3ed4b147, v66
	v_add_f32_e32 v95, v95, v76
	v_mov_b32_e32 v76, v96
	v_fmac_f32_e32 v76, 0xbf68dda4, v40
	v_mul_f32_e32 v97, 0x3f68dda4, v64
	v_add_f32_e32 v76, v76, v75
	;; [unrolled: 4-line block ×3, first 2 shown]
	v_mov_b32_e32 v95, v59
	v_mul_f32_e32 v98, 0xbf75a155, v57
	v_fmac_f32_e32 v95, 0x3f7d64f0, v9
	v_mov_b32_e32 v57, v98
	v_add_f32_e32 v95, v1, v95
	v_fmac_f32_e32 v57, 0xbe903f40, v8
	v_mul_f32_e32 v58, 0x3ed4b147, v58
	v_add_f32_e32 v57, v57, v95
	v_mov_b32_e32 v95, v58
	v_fmac_f32_e32 v95, 0xbf68dda4, v10
	v_mul_f32_e32 v60, 0x3f575c64, v60
	v_add_f32_e32 v57, v95, v57
	v_mov_b32_e32 v95, v60
	v_fmac_f32_e32 v95, 0x3f0a6770, v11
	v_add_f32_e32 v57, v95, v57
	v_mul_f32_e32 v95, 0xbf7d64f0, v53
	v_mov_b32_e32 v53, v95
	v_mul_f32_e32 v99, 0x3e903f40, v52
	v_fmac_f32_e32 v53, 0xbe11bafb, v4
	v_mov_b32_e32 v52, v99
	v_add_f32_e32 v53, v0, v53
	v_fmac_f32_e32 v52, 0xbf75a155, v5
	v_mul_f32_e32 v54, 0x3f68dda4, v54
	v_add_f32_e32 v52, v52, v53
	v_mov_b32_e32 v53, v54
	v_add_f32_e32 v42, v1, v42
	v_fmac_f32_e32 v53, 0x3ed4b147, v6
	v_mul_f32_e32 v100, 0xbf0a6770, v56
	v_add_f32_e32 v41, v42, v41
	v_add_f32_e32 v52, v53, v52
	v_mov_b32_e32 v53, v100
	v_mul_f32_e32 v64, 0xbf4178ce, v64
	v_add_f32_e32 v39, v41, v39
	v_fmac_f32_e32 v53, 0x3f575c64, v7
	v_mov_b32_e32 v56, v64
	v_add_f32_e32 v13, v39, v13
	v_add_f32_e32 v52, v53, v52
	v_mul_f32_e32 v66, 0xbf27a4f4, v66
	v_fmac_f32_e32 v56, 0xbf27a4f4, v12
	v_add_f32_e32 v13, v13, v14
	v_mov_b32_e32 v53, v66
	v_add_f32_e32 v52, v56, v52
	v_mul_f32_e32 v56, 0xbf68dda4, v9
	v_add_f32_e32 v13, v13, v15
	v_fmac_f32_e32 v53, 0x3f4178ce, v40
	v_sub_f32_e32 v56, v68, v56
	v_mul_f32_e32 v68, 0x3ed4b147, v4
	v_add_f32_e32 v13, v13, v16
	v_add_f32_e32 v53, v53, v57
	v_mul_f32_e32 v57, 0xbf4178ce, v8
	v_add_f32_e32 v61, v68, v61
	v_mul_f32_e32 v68, 0xbf27a4f4, v5
	v_add_f32_e32 v13, v13, v18
	v_add_f32_e32 v14, v0, v38
	v_sub_f32_e32 v57, v69, v57
	v_add_f32_e32 v56, v1, v56
	v_add_f32_e32 v62, v68, v62
	;; [unrolled: 1-line block ×5, first 2 shown]
	v_fmac_f32_e32 v77, 0xbe903f40, v9
	v_add_f32_e32 v56, v57, v56
	v_mul_f32_e32 v57, 0x3e903f40, v10
	v_add_f32_e32 v61, v62, v61
	v_mul_f32_e32 v62, 0xbf75a155, v6
	v_add_f32_e32 v14, v13, v17
	v_add_f32_e32 v13, v15, v29
	;; [unrolled: 1-line block ×3, first 2 shown]
	v_fmac_f32_e32 v78, 0x3f0a6770, v8
	v_sub_f32_e32 v57, v70, v57
	v_add_f32_e32 v62, v62, v63
	v_add_f32_e32 v15, v78, v15
	v_fmac_f32_e32 v79, 0xbf4178ce, v10
	v_add_f32_e32 v56, v57, v56
	v_mul_f32_e32 v57, 0x3f7d64f0, v11
	v_add_f32_e32 v61, v62, v61
	v_mul_f32_e32 v62, 0xbe11bafb, v7
	v_add_f32_e32 v15, v79, v15
	v_fmac_f32_e32 v80, 0x3f68dda4, v11
	v_sub_f32_e32 v57, v71, v57
	v_add_f32_e32 v62, v62, v65
	v_add_f32_e32 v15, v80, v15
	v_fmac_f32_e32 v85, 0xbf7d64f0, v40
	v_add_f32_e32 v56, v57, v56
	v_mul_f32_e32 v57, 0x3f0a6770, v40
	v_add_f32_e32 v61, v62, v61
	v_mul_f32_e32 v62, 0x3f575c64, v12
	v_add_f32_e32 v16, v85, v15
	v_fma_f32 v15, v4, s14, -v81
	v_sub_f32_e32 v57, v72, v57
	v_add_f32_e32 v62, v62, v67
	v_add_f32_e32 v15, v0, v15
	v_fma_f32 v17, v5, s6, -v82
	v_add_f32_e32 v57, v57, v56
	v_add_f32_e32 v56, v62, v61
	v_mul_f32_e32 v61, 0xbf0a6770, v9
	v_add_f32_e32 v15, v17, v15
	v_fma_f32 v17, v6, s11, -v83
	v_sub_f32_e32 v49, v49, v61
	v_mul_f32_e32 v61, 0xbf68dda4, v8
	v_add_f32_e32 v15, v17, v15
	v_fma_f32 v17, v7, s7, -v84
	v_sub_f32_e32 v48, v48, v61
	v_add_f32_e32 v49, v1, v49
	v_add_f32_e32 v15, v17, v15
	v_fma_f32 v17, v12, s10, -v86
	v_fmac_f32_e32 v87, 0xbf4178ce, v9
	v_add_f32_e32 v48, v48, v49
	v_mul_f32_e32 v49, 0xbf7d64f0, v10
	v_add_f32_e32 v15, v17, v15
	v_add_f32_e32 v17, v1, v87
	v_fmac_f32_e32 v88, 0x3f7d64f0, v8
	v_sub_f32_e32 v47, v47, v49
	v_mul_f32_e32 v49, 0x3f575c64, v4
	v_add_f32_e32 v17, v88, v17
	v_fmac_f32_e32 v89, 0xbf0a6770, v10
	v_add_f32_e32 v46, v49, v46
	v_mul_f32_e32 v49, 0x3ed4b147, v5
	v_add_f32_e32 v17, v89, v17
	v_fmac_f32_e32 v90, 0xbe903f40, v11
	v_add_f32_e32 v45, v49, v45
	v_add_f32_e32 v46, v0, v46
	;; [unrolled: 1-line block ×3, first 2 shown]
	v_fmac_f32_e32 v96, 0x3f68dda4, v40
	v_add_f32_e32 v45, v45, v46
	v_mul_f32_e32 v46, 0xbe11bafb, v6
	v_add_f32_e32 v13, v13, v30
	v_add_f32_e32 v18, v96, v17
	v_fma_f32 v17, v4, s11, -v91
	v_fma_f32 v4, v4, s10, -v95
	v_add_f32_e32 v44, v46, v44
	v_add_f32_e32 v13, v13, v31
	;; [unrolled: 1-line block ×4, first 2 shown]
	v_fma_f32 v4, v5, s14, -v99
	v_add_f32_e32 v47, v47, v48
	v_mul_f32_e32 v48, 0xbf4178ce, v11
	v_add_f32_e32 v44, v44, v45
	v_mul_f32_e32 v45, 0xbf27a4f4, v7
	v_add_f32_e32 v13, v13, v32
	v_fmac_f32_e32 v59, 0xbf7d64f0, v9
	v_add_f32_e32 v0, v4, v0
	v_fma_f32 v4, v6, s7, -v54
	v_sub_f32_e32 v48, v51, v48
	v_add_f32_e32 v43, v45, v43
	v_add_f32_e32 v13, v13, v33
	v_fma_f32 v19, v5, s10, -v92
	v_add_f32_e32 v1, v1, v59
	v_fmac_f32_e32 v98, 0x3e903f40, v8
	v_add_f32_e32 v0, v4, v0
	v_fma_f32 v4, v7, s6, -v100
	v_add_f32_e32 v47, v48, v47
	v_mul_f32_e32 v48, 0xbe903f40, v40
	v_add_f32_e32 v43, v43, v44
	v_mul_f32_e32 v44, 0xbf75a155, v12
	v_add_f32_e32 v13, v13, v34
	v_add_f32_e32 v17, v19, v17
	v_fma_f32 v19, v6, s6, -v93
	v_add_f32_e32 v1, v98, v1
	v_fmac_f32_e32 v58, 0x3f68dda4, v10
	v_add_f32_e32 v0, v4, v0
	v_fma_f32 v4, v12, s11, -v64
	v_mov_b32_e32 v5, 3
	v_sub_f32_e32 v48, v55, v48
	v_add_f32_e32 v45, v44, v50
	v_add_f32_e32 v13, v13, v35
	v_add_f32_e32 v17, v19, v17
	v_fma_f32 v19, v7, s14, -v94
	v_add_f32_e32 v1, v58, v1
	v_fmac_f32_e32 v60, 0xbf0a6770, v11
	v_add_f32_e32 v0, v4, v0
	v_mul_u32_u24_e32 v4, 0x108, v27
	v_lshlrev_b32_sdwa v5, v5, v28 dst_sel:DWORD dst_unused:UNUSED_PAD src0_sel:DWORD src1_sel:BYTE_0
	v_add_f32_e32 v44, v48, v47
	v_add_f32_e32 v43, v45, v43
	;; [unrolled: 1-line block ×4, first 2 shown]
	v_fma_f32 v19, v12, s7, -v97
	v_add_f32_e32 v1, v60, v1
	v_fmac_f32_e32 v66, 0xbf4178ce, v40
	v_add3_u32 v4, 0, v4, v5
	v_add_f32_e32 v17, v19, v17
	v_add_f32_e32 v1, v66, v1
	ds_write2_b64 v4, v[13:14], v[43:44] offset1:3
	ds_write2_b64 v4, v[56:57], v[52:53] offset0:6 offset1:9
	ds_write2_b64 v4, v[75:76], v[73:74] offset0:12 offset1:15
	;; [unrolled: 1-line block ×4, first 2 shown]
	ds_write_b64 v4, v[22:23] offset:240
.LBB0_17:
	s_or_b64 exec, exec, s[4:5]
	s_movk_i32 s4, 0xf9
	v_mul_lo_u16_sdwa v0, v24, s4 dst_sel:DWORD dst_unused:UNUSED_PAD src0_sel:BYTE_0 src1_sel:DWORD
	v_mul_lo_u16_sdwa v4, v25, s4 dst_sel:DWORD dst_unused:UNUSED_PAD src0_sel:BYTE_0 src1_sel:DWORD
	v_lshrrev_b16_e32 v45, 13, v0
	v_lshrrev_b16_e32 v47, 13, v4
	v_mul_lo_u16_e32 v0, 33, v45
	v_mul_lo_u16_e32 v4, 33, v47
	v_sub_u16_e32 v46, v24, v0
	v_mov_b32_e32 v0, 4
	v_sub_u16_e32 v48, v25, v4
	v_lshlrev_b32_sdwa v1, v0, v46 dst_sel:DWORD dst_unused:UNUSED_PAD src0_sel:DWORD src1_sel:BYTE_0
	v_lshlrev_b32_sdwa v0, v0, v48 dst_sel:DWORD dst_unused:UNUSED_PAD src0_sel:DWORD src1_sel:BYTE_0
	s_mov_b32 s4, 0xf83f
	s_waitcnt lgkmcnt(0)
	s_barrier
	global_load_dwordx4 v[4:7], v1, s[8:9] offset:240
	global_load_dwordx4 v[14:17], v0, s[8:9] offset:240
	v_mul_u32_u24_sdwa v0, v26, s4 dst_sel:DWORD dst_unused:UNUSED_PAD src0_sel:WORD_0 src1_sel:DWORD
	v_lshrrev_b32_e32 v49, 21, v0
	v_mul_lo_u16_e32 v0, 33, v49
	v_sub_u16_e32 v50, v26, v0
	v_lshlrev_b32_e32 v0, 4, v50
	global_load_dwordx4 v[29:32], v0, s[8:9] offset:240
	v_lshl_add_u32 v27, v24, 3, 0
	v_lshl_add_u32 v0, v25, 3, 0
	v_lshl_add_u32 v1, v26, 3, 0
	v_add_u32_e32 v28, 0x800, v27
	v_add_u32_e32 v26, 0x1000, v27
	;; [unrolled: 1-line block ×3, first 2 shown]
	ds_read2_b64 v[33:36], v28 offset0:107 offset1:228
	ds_read2_b64 v[37:40], v26 offset0:93 offset1:214
	ds_read_b64 v[12:13], v27
	ds_read_b64 v[10:11], v0
	;; [unrolled: 1-line block ×3, first 2 shown]
	ds_read2_b64 v[41:44], v25 offset0:79 offset1:200
	s_waitcnt vmcnt(0) lgkmcnt(0)
	s_barrier
	v_mul_f32_e32 v8, v5, v34
	v_mul_f32_e32 v9, v7, v40
	;; [unrolled: 1-line block ×8, first 2 shown]
	v_fmac_f32_e32 v8, v4, v33
	v_fmac_f32_e32 v9, v6, v39
	v_mul_f32_e32 v51, v30, v38
	v_mul_f32_e32 v52, v44, v32
	v_fma_f32 v4, v4, v34, -v5
	v_fma_f32 v5, v6, v40, -v7
	;; [unrolled: 1-line block ×4, first 2 shown]
	v_add_f32_e32 v15, v8, v9
	v_mul_f32_e32 v30, v30, v37
	v_mul_f32_e32 v32, v43, v32
	v_fmac_f32_e32 v18, v14, v35
	v_fmac_f32_e32 v51, v29, v37
	;; [unrolled: 1-line block ×3, first 2 shown]
	v_add_f32_e32 v14, v12, v8
	v_add_f32_e32 v17, v13, v4
	v_sub_f32_e32 v34, v6, v7
	v_add_f32_e32 v35, v11, v6
	v_add_f32_e32 v6, v6, v7
	v_fma_f32 v12, -0.5, v15, v12
	v_fmac_f32_e32 v19, v16, v41
	v_fma_f32 v29, v29, v38, -v30
	v_fma_f32 v30, v44, v31, -v32
	v_sub_f32_e32 v16, v4, v5
	v_add_f32_e32 v31, v4, v5
	v_add_f32_e32 v5, v17, v5
	v_fmac_f32_e32 v11, -0.5, v6
	v_mov_b32_e32 v6, v12
	v_add_f32_e32 v17, v51, v52
	v_sub_f32_e32 v32, v8, v9
	v_add_f32_e32 v8, v10, v18
	v_add_f32_e32 v33, v18, v19
	v_sub_f32_e32 v18, v18, v19
	v_add_f32_e32 v4, v14, v9
	v_fmac_f32_e32 v12, 0x3f5db3d7, v16
	v_mov_b32_e32 v9, v11
	v_fmac_f32_e32 v6, 0xbf5db3d7, v16
	v_add_f32_e32 v16, v0, v51
	v_fma_f32 v0, -0.5, v17, v0
	v_add_f32_e32 v14, v8, v19
	v_fmac_f32_e32 v11, 0xbf5db3d7, v18
	v_fmac_f32_e32 v9, 0x3f5db3d7, v18
	v_sub_f32_e32 v17, v29, v30
	v_mov_b32_e32 v18, v0
	v_add_f32_e32 v19, v29, v30
	v_fmac_f32_e32 v18, 0xbf5db3d7, v17
	v_fmac_f32_e32 v0, 0x3f5db3d7, v17
	v_add_f32_e32 v17, v1, v29
	v_fmac_f32_e32 v1, -0.5, v19
	v_fmac_f32_e32 v13, -0.5, v31
	v_add_f32_e32 v17, v17, v30
	v_sub_f32_e32 v29, v51, v52
	v_mov_b32_e32 v19, v1
	v_mov_b32_e32 v30, 3
	v_add_f32_e32 v15, v35, v7
	v_mov_b32_e32 v7, v13
	v_fmac_f32_e32 v19, 0x3f5db3d7, v29
	v_fmac_f32_e32 v1, 0xbf5db3d7, v29
	v_mul_u32_u24_e32 v29, 0x318, v45
	v_lshlrev_b32_sdwa v31, v30, v46 dst_sel:DWORD dst_unused:UNUSED_PAD src0_sel:DWORD src1_sel:BYTE_0
	v_fma_f32 v10, -0.5, v33, v10
	v_fmac_f32_e32 v7, 0x3f5db3d7, v32
	v_add3_u32 v29, 0, v29, v31
	v_fmac_f32_e32 v13, 0xbf5db3d7, v32
	v_mov_b32_e32 v8, v10
	ds_write2_b64 v29, v[4:5], v[6:7] offset1:33
	ds_write_b64 v29, v[12:13] offset:528
	v_mul_u32_u24_e32 v29, 0x318, v47
	v_lshlrev_b32_sdwa v30, v30, v48 dst_sel:DWORD dst_unused:UNUSED_PAD src0_sel:DWORD src1_sel:BYTE_0
	v_fmac_f32_e32 v8, 0xbf5db3d7, v34
	v_add3_u32 v29, 0, v29, v30
	v_fmac_f32_e32 v10, 0x3f5db3d7, v34
	ds_write2_b64 v29, v[14:15], v[8:9] offset1:33
	ds_write_b64 v29, v[10:11] offset:528
	v_mul_u32_u24_e32 v29, 0x318, v49
	v_lshlrev_b32_e32 v30, 3, v50
	v_add_f32_e32 v16, v16, v52
	v_add3_u32 v29, 0, v29, v30
	ds_write2_b64 v29, v[16:17], v[18:19] offset1:33
	ds_write_b64 v29, v[0:1] offset:528
	s_waitcnt lgkmcnt(0)
	s_barrier
	s_and_saveexec_b64 s[4:5], s[0:1]
	s_cbranch_execnz .LBB0_20
; %bb.18:
	s_or_b64 exec, exec, s[4:5]
	s_and_b64 s[0:1], vcc, s[0:1]
	s_and_saveexec_b64 s[4:5], s[0:1]
	s_cbranch_execnz .LBB0_21
.LBB0_19:
	s_endpgm
.LBB0_20:
	v_add_u32_e32 v0, 0x400, v27
	ds_read2_b64 v[4:7], v27 offset1:99
	ds_read2_b64 v[12:15], v0 offset0:70 offset1:169
	ds_read2_b64 v[8:11], v28 offset0:140 offset1:239
	;; [unrolled: 1-line block ×4, first 2 shown]
	ds_read_b64 v[22:23], v27 offset:7920
	s_or_b64 exec, exec, s[4:5]
	s_and_b64 s[0:1], vcc, s[0:1]
	s_and_saveexec_b64 s[4:5], s[0:1]
	s_cbranch_execz .LBB0_19
.LBB0_21:
	v_mul_u32_u24_e32 v25, 10, v24
	v_lshlrev_b32_e32 v45, 3, v25
	global_load_dwordx4 v[25:28], v45, s[8:9] offset:832
	global_load_dwordx4 v[29:32], v45, s[8:9] offset:768
	;; [unrolled: 1-line block ×5, first 2 shown]
	s_mov_b32 s0, 0xbf75a155
	s_mov_b32 s1, 0x3f575c64
	;; [unrolled: 1-line block ×5, first 2 shown]
	s_waitcnt vmcnt(4) lgkmcnt(0)
	v_mul_f32_e32 v45, v22, v28
	s_waitcnt vmcnt(3)
	v_mul_f32_e32 v46, v6, v30
	v_mul_f32_e32 v28, v23, v28
	;; [unrolled: 1-line block ×4, first 2 shown]
	s_waitcnt vmcnt(0)
	v_mul_f32_e32 v54, v10, v42
	v_mul_f32_e32 v42, v11, v42
	v_fma_f32 v23, v23, v27, -v45
	v_fma_f32 v45, v7, v29, -v46
	v_mul_f32_e32 v30, v7, v30
	v_mul_f32_e32 v32, v13, v32
	;; [unrolled: 1-line block ×6, first 2 shown]
	v_fmac_f32_e32 v28, v22, v27
	v_fma_f32 v22, v3, v25, -v47
	v_fma_f32 v13, v13, v31, -v48
	v_fmac_f32_e32 v42, v10, v41
	v_add_f32_e32 v10, v23, v45
	v_mul_f32_e32 v26, v3, v26
	v_mul_f32_e32 v38, v15, v38
	;; [unrolled: 1-line block ×6, first 2 shown]
	v_fmac_f32_e32 v30, v6, v29
	v_fmac_f32_e32 v32, v12, v31
	v_fma_f32 v12, v1, v35, -v49
	v_fma_f32 v15, v15, v37, -v50
	v_fmac_f32_e32 v34, v18, v33
	v_fma_f32 v18, v11, v41, -v54
	v_add_f32_e32 v11, v22, v13
	v_mul_f32_e32 v47, 0xbf75a155, v10
	v_fmac_f32_e32 v26, v2, v25
	v_fmac_f32_e32 v38, v14, v37
	;; [unrolled: 1-line block ×3, first 2 shown]
	v_fma_f32 v14, v19, v33, -v51
	v_fma_f32 v19, v9, v39, -v52
	v_fmac_f32_e32 v44, v16, v43
	v_sub_f32_e32 v25, v30, v28
	v_add_f32_e32 v16, v12, v15
	v_mul_f32_e32 v48, 0x3f575c64, v11
	v_mov_b32_e32 v0, v47
	v_mul_f32_e32 v40, v9, v40
	v_fma_f32 v17, v17, v43, -v53
	v_sub_f32_e32 v27, v32, v26
	v_add_f32_e32 v31, v14, v19
	v_sub_f32_e32 v41, v45, v23
	v_mul_f32_e32 v49, 0xbf27a4f4, v16
	v_mov_b32_e32 v1, v48
	v_fmac_f32_e32 v0, 0x3e903f40, v25
	v_fmac_f32_e32 v40, v8, v39
	v_sub_f32_e32 v29, v38, v36
	v_add_f32_e32 v35, v17, v18
	v_sub_f32_e32 v46, v13, v22
	v_mul_f32_e32 v50, 0x3ed4b147, v31
	v_mul_f32_e32 v52, 0xbe903f40, v41
	v_mov_b32_e32 v2, v49
	v_fmac_f32_e32 v1, 0xbf0a6770, v27
	v_add_f32_e32 v0, v5, v0
	v_sub_f32_e32 v33, v40, v34
	v_add_f32_e32 v39, v28, v30
	v_mul_f32_e32 v51, 0xbe11bafb, v35
	v_mul_f32_e32 v53, 0x3f0a6770, v46
	v_mov_b32_e32 v3, v50
	v_mov_b32_e32 v7, v52
	v_fmac_f32_e32 v2, 0x3f4178ce, v29
	v_add_f32_e32 v0, v0, v1
	v_sub_f32_e32 v55, v15, v12
	v_sub_f32_e32 v37, v42, v44
	v_add_f32_e32 v43, v26, v32
	v_mov_b32_e32 v6, v51
	v_mov_b32_e32 v8, v53
	v_fmac_f32_e32 v3, 0xbf68dda4, v33
	v_fmac_f32_e32 v7, 0xbf75a155, v39
	v_add_f32_e32 v0, v0, v2
	v_mul_f32_e32 v56, 0xbf4178ce, v55
	v_fmac_f32_e32 v6, 0x3f7d64f0, v37
	v_fmac_f32_e32 v8, 0x3f575c64, v43
	v_add_f32_e32 v7, v4, v7
	v_add_f32_e32 v0, v0, v3
	;; [unrolled: 1-line block ×3, first 2 shown]
	v_mov_b32_e32 v2, v56
	v_sub_f32_e32 v58, v19, v14
	v_add_f32_e32 v1, v0, v6
	v_add_f32_e32 v0, v7, v8
	v_fmac_f32_e32 v2, 0xbf27a4f4, v54
	v_mul_f32_e32 v59, 0x3f68dda4, v58
	v_add_f32_e32 v0, v0, v2
	v_add_f32_e32 v57, v34, v40
	v_mov_b32_e32 v2, v59
	v_sub_f32_e32 v61, v18, v17
	v_fmac_f32_e32 v2, 0x3ed4b147, v57
	v_mul_f32_e32 v62, 0xbf7d64f0, v61
	v_add_f32_e32 v0, v0, v2
	v_add_f32_e32 v60, v44, v42
	v_mov_b32_e32 v2, v62
	v_fmac_f32_e32 v2, 0xbe11bafb, v60
	v_mul_f32_e32 v63, 0xbf27a4f4, v10
	v_add_f32_e32 v0, v0, v2
	v_mov_b32_e32 v2, v63
	v_mul_f32_e32 v64, 0xbe11bafb, v11
	v_fmac_f32_e32 v2, 0x3f4178ce, v25
	v_mov_b32_e32 v3, v64
	v_add_f32_e32 v2, v5, v2
	v_fmac_f32_e32 v3, 0xbf7d64f0, v27
	v_mul_f32_e32 v65, 0x3f575c64, v16
	v_add_f32_e32 v2, v2, v3
	v_mov_b32_e32 v3, v65
	v_fmac_f32_e32 v3, 0x3f0a6770, v29
	v_mul_f32_e32 v66, 0xbf75a155, v31
	v_add_f32_e32 v2, v2, v3
	v_mov_b32_e32 v3, v66
	v_fmac_f32_e32 v3, 0x3e903f40, v33
	v_mul_f32_e32 v67, 0x3ed4b147, v35
	v_add_f32_e32 v2, v2, v3
	v_mov_b32_e32 v3, v67
	v_fmac_f32_e32 v3, 0xbf68dda4, v37
	v_mul_f32_e32 v68, 0xbf4178ce, v41
	v_add_f32_e32 v3, v2, v3
	v_mov_b32_e32 v2, v68
	v_mul_f32_e32 v69, 0x3f7d64f0, v46
	v_fmac_f32_e32 v2, 0xbf27a4f4, v39
	v_mov_b32_e32 v6, v69
	v_add_f32_e32 v2, v4, v2
	v_fmac_f32_e32 v6, 0xbe11bafb, v43
	v_mul_f32_e32 v70, 0xbf0a6770, v55
	v_add_f32_e32 v2, v2, v6
	v_mov_b32_e32 v6, v70
	v_fmac_f32_e32 v6, 0x3f575c64, v54
	v_mul_f32_e32 v71, 0xbe903f40, v58
	v_add_f32_e32 v2, v2, v6
	v_mov_b32_e32 v6, v71
	v_fmac_f32_e32 v6, 0xbf75a155, v57
	v_mul_f32_e32 v72, 0x3f68dda4, v61
	;; [unrolled: 20-line block ×5, first 2 shown]
	v_add_f32_e32 v8, v8, v9
	v_mov_b32_e32 v9, v87
	v_fmac_f32_e32 v9, 0xbf0a6770, v37
	v_mul_f32_e32 v88, 0xbf68dda4, v41
	v_add_f32_e32 v9, v8, v9
	v_mov_b32_e32 v8, v88
	v_mul_f32_e32 v89, 0xbf4178ce, v46
	v_fmac_f32_e32 v8, 0x3ed4b147, v39
	v_mov_b32_e32 v90, v89
	v_add_f32_e32 v8, v4, v8
	v_fmac_f32_e32 v90, 0xbf27a4f4, v43
	v_add_f32_e32 v8, v8, v90
	v_mul_f32_e32 v90, 0x3e903f40, v55
	v_mov_b32_e32 v91, v90
	v_fmac_f32_e32 v91, 0xbf75a155, v54
	v_add_f32_e32 v8, v8, v91
	v_mul_f32_e32 v91, 0x3f7d64f0, v58
	v_mov_b32_e32 v92, v91
	;; [unrolled: 4-line block ×4, first 2 shown]
	v_mul_f32_e32 v94, 0x3ed4b147, v11
	v_fmac_f32_e32 v10, 0x3f0a6770, v25
	v_mov_b32_e32 v11, v94
	v_add_f32_e32 v10, v5, v10
	v_fmac_f32_e32 v11, 0x3f68dda4, v27
	v_mul_f32_e32 v95, 0xbe11bafb, v16
	v_add_f32_e32 v10, v10, v11
	v_mov_b32_e32 v11, v95
	v_fmac_f32_e32 v11, 0x3f7d64f0, v29
	v_mul_f32_e32 v31, 0xbf27a4f4, v31
	v_add_f32_e32 v10, v10, v11
	v_mov_b32_e32 v11, v31
	;; [unrolled: 4-line block ×4, first 2 shown]
	v_mul_f32_e32 v46, 0xbf68dda4, v46
	v_fmac_f32_e32 v10, 0x3f575c64, v39
	v_mov_b32_e32 v16, v46
	v_add_f32_e32 v10, v4, v10
	v_fmac_f32_e32 v16, 0x3ed4b147, v43
	v_mul_f32_e32 v55, 0xbf7d64f0, v55
	v_add_f32_e32 v10, v10, v16
	v_mov_b32_e32 v16, v55
	v_fmac_f32_e32 v16, 0xbe11bafb, v54
	v_mul_f32_e32 v58, 0xbf4178ce, v58
	v_add_f32_e32 v10, v10, v16
	v_mov_b32_e32 v16, v58
	;; [unrolled: 4-line block ×3, first 2 shown]
	v_fmac_f32_e32 v16, 0xbf75a155, v60
	v_add_f32_e32 v10, v10, v16
	v_add_f32_e32 v16, v5, v45
	;; [unrolled: 1-line block ×7, first 2 shown]
	v_fmac_f32_e32 v47, 0xbe903f40, v25
	v_add_f32_e32 v13, v14, v13
	v_add_f32_e32 v14, v5, v47
	v_fmac_f32_e32 v48, 0x3f0a6770, v27
	v_add_f32_e32 v14, v14, v48
	v_fmac_f32_e32 v49, 0xbf4178ce, v29
	;; [unrolled: 2-line block ×4, first 2 shown]
	v_add_f32_e32 v15, v14, v51
	v_fma_f32 v14, v39, s0, -v52
	v_add_f32_e32 v14, v4, v14
	v_fma_f32 v16, v43, s1, -v53
	;; [unrolled: 2-line block ×5, first 2 shown]
	v_fmac_f32_e32 v63, 0xbf4178ce, v25
	v_add_f32_e32 v14, v14, v16
	v_add_f32_e32 v16, v5, v63
	v_fmac_f32_e32 v64, 0x3f7d64f0, v27
	v_add_f32_e32 v16, v16, v64
	v_fmac_f32_e32 v65, 0xbf0a6770, v29
	;; [unrolled: 2-line block ×4, first 2 shown]
	v_add_f32_e32 v17, v16, v67
	v_fma_f32 v16, v39, s4, -v68
	v_add_f32_e32 v16, v4, v16
	v_fma_f32 v18, v43, s6, -v69
	v_add_f32_e32 v16, v16, v18
	v_fma_f32 v18, v54, s1, -v70
	v_add_f32_e32 v16, v16, v18
	v_fma_f32 v18, v57, s0, -v71
	v_add_f32_e32 v16, v16, v18
	v_fma_f32 v18, v60, s5, -v72
	v_fmac_f32_e32 v73, 0xbf7d64f0, v25
	v_add_f32_e32 v16, v16, v18
	v_add_f32_e32 v18, v5, v73
	v_fmac_f32_e32 v74, 0x3e903f40, v27
	v_add_f32_e32 v18, v18, v74
	v_fmac_f32_e32 v75, 0x3f68dda4, v29
	;; [unrolled: 2-line block ×4, first 2 shown]
	v_add_f32_e32 v12, v12, v13
	v_add_f32_e32 v19, v18, v77
	v_fma_f32 v18, v39, s6, -v78
	v_add_f32_e32 v12, v22, v12
	v_add_f32_e32 v18, v4, v18
	v_fma_f32 v22, v43, s0, -v79
	v_add_f32_e32 v13, v23, v12
	v_add_f32_e32 v12, v4, v30
	;; [unrolled: 1-line block ×3, first 2 shown]
	v_fma_f32 v22, v54, s5, -v80
	v_add_f32_e32 v12, v12, v32
	v_add_f32_e32 v18, v18, v22
	v_fma_f32 v22, v57, s1, -v81
	v_add_f32_e32 v12, v12, v38
	v_add_f32_e32 v18, v18, v22
	v_fma_f32 v22, v60, s4, -v82
	v_fmac_f32_e32 v83, 0xbf68dda4, v25
	v_add_f32_e32 v12, v12, v40
	v_add_f32_e32 v18, v18, v22
	;; [unrolled: 1-line block ×3, first 2 shown]
	v_fmac_f32_e32 v84, 0xbf4178ce, v27
	v_add_f32_e32 v12, v12, v42
	v_add_f32_e32 v22, v22, v84
	v_fmac_f32_e32 v85, 0x3e903f40, v29
	v_add_f32_e32 v12, v44, v12
	v_add_f32_e32 v22, v22, v85
	v_fmac_f32_e32 v86, 0x3f7d64f0, v33
	v_add_f32_e32 v12, v34, v12
	v_add_f32_e32 v22, v22, v86
	v_fmac_f32_e32 v87, 0x3f0a6770, v37
	v_add_f32_e32 v12, v36, v12
	v_add_f32_e32 v23, v22, v87
	v_fma_f32 v22, v39, s5, -v88
	v_add_f32_e32 v12, v26, v12
	v_add_f32_e32 v22, v4, v22
	v_fma_f32 v26, v43, s4, -v89
	v_add_f32_e32 v22, v22, v26
	v_fma_f32 v26, v54, s0, -v90
	;; [unrolled: 2-line block ×3, first 2 shown]
	v_fmac_f32_e32 v93, 0xbf0a6770, v25
	v_fma_f32 v25, v39, s1, -v41
	v_add_f32_e32 v22, v22, v26
	v_fma_f32 v26, v60, s1, -v92
	v_add_f32_e32 v4, v4, v25
	;; [unrolled: 2-line block ×3, first 2 shown]
	v_add_f32_e32 v5, v5, v93
	v_fmac_f32_e32 v94, 0xbf68dda4, v27
	v_add_f32_e32 v4, v4, v25
	v_mad_u64_u32 v[25:26], s[8:9], s2, v24, 0
	v_add_f32_e32 v5, v5, v94
	v_fmac_f32_e32 v95, 0xbf7d64f0, v29
	v_add_f32_e32 v5, v5, v95
	v_fmac_f32_e32 v31, 0xbf4178ce, v33
	;; [unrolled: 2-line block ×3, first 2 shown]
	v_fma_f32 v27, v54, s6, -v55
	v_add_f32_e32 v12, v28, v12
	v_add_f32_e32 v5, v5, v35
	;; [unrolled: 1-line block ×3, first 2 shown]
	v_mov_b32_e32 v4, v26
	v_fma_f32 v29, v57, s4, -v58
	v_mad_u64_u32 v[26:27], s[4:5], s3, v24, v[4:5]
	v_add_f32_e32 v4, v28, v29
	v_fma_f32 v27, v60, s0, -v61
	v_add_f32_e32 v4, v4, v27
	v_mov_b32_e32 v27, s13
	v_add_co_u32_e32 v29, vcc, s12, v20
	v_addc_co_u32_e32 v30, vcc, v27, v21, vcc
	v_add_u32_e32 v27, 0x63, v24
	v_lshlrev_b64 v[20:21], 3, v[25:26]
	v_mad_u64_u32 v[25:26], s[0:1], s2, v27, 0
	v_add_u32_e32 v31, 0xc6, v24
	v_add_co_u32_e32 v20, vcc, v29, v20
	v_mad_u64_u32 v[26:27], s[0:1], s3, v27, v[26:27]
	v_mad_u64_u32 v[27:28], s[0:1], s2, v31, 0
	v_addc_co_u32_e32 v21, vcc, v30, v21, vcc
	global_store_dwordx2 v[20:21], v[12:13], off
	v_mov_b32_e32 v20, v28
	v_mad_u64_u32 v[20:21], s[0:1], s3, v31, v[20:21]
	v_lshlrev_b64 v[12:13], 3, v[25:26]
	v_add_co_u32_e32 v12, vcc, v29, v12
	v_addc_co_u32_e32 v13, vcc, v30, v13, vcc
	v_mov_b32_e32 v28, v20
	v_add_u32_e32 v20, 0x129, v24
	global_store_dwordx2 v[12:13], v[10:11], off
	v_mad_u64_u32 v[12:13], s[0:1], s2, v20, 0
	v_lshlrev_b64 v[10:11], 3, v[27:28]
	v_mad_u64_u32 v[20:21], s[0:1], s3, v20, v[13:14]
	v_add_u32_e32 v21, 0x18c, v24
	v_mad_u64_u32 v[25:26], s[0:1], s2, v21, 0
	v_add_co_u32_e32 v10, vcc, v29, v10
	v_addc_co_u32_e32 v11, vcc, v30, v11, vcc
	global_store_dwordx2 v[10:11], v[8:9], off
	v_mov_b32_e32 v10, v26
	v_mov_b32_e32 v13, v20
	v_mad_u64_u32 v[10:11], s[0:1], s3, v21, v[10:11]
	v_lshlrev_b64 v[8:9], 3, v[12:13]
	v_add_u32_e32 v12, 0x252, v24
	v_add_co_u32_e32 v8, vcc, v29, v8
	v_addc_co_u32_e32 v9, vcc, v30, v9, vcc
	v_mov_b32_e32 v26, v10
	v_add_u32_e32 v10, 0x1ef, v24
	global_store_dwordx2 v[8:9], v[6:7], off
	v_mad_u64_u32 v[8:9], s[0:1], s2, v10, 0
	v_lshlrev_b64 v[6:7], 3, v[25:26]
	v_mad_u64_u32 v[9:10], s[0:1], s3, v10, v[9:10]
	v_mad_u64_u32 v[10:11], s[0:1], s2, v12, 0
	v_add_co_u32_e32 v6, vcc, v29, v6
	v_addc_co_u32_e32 v7, vcc, v30, v7, vcc
	global_store_dwordx2 v[6:7], v[2:3], off
	v_mov_b32_e32 v6, v11
	v_mad_u64_u32 v[6:7], s[0:1], s3, v12, v[6:7]
	v_lshlrev_b64 v[2:3], 3, v[8:9]
	v_add_u32_e32 v9, 0x318, v24
	v_add_co_u32_e32 v2, vcc, v29, v2
	v_addc_co_u32_e32 v3, vcc, v30, v3, vcc
	v_mov_b32_e32 v11, v6
	v_add_u32_e32 v6, 0x2b5, v24
	global_store_dwordx2 v[2:3], v[0:1], off
	v_mad_u64_u32 v[2:3], s[0:1], s2, v6, 0
	v_lshlrev_b64 v[0:1], 3, v[10:11]
	v_mad_u64_u32 v[6:7], s[0:1], s3, v6, v[3:4]
	v_mad_u64_u32 v[7:8], s[0:1], s2, v9, 0
	v_add_co_u32_e32 v0, vcc, v29, v0
	v_addc_co_u32_e32 v1, vcc, v30, v1, vcc
	v_mov_b32_e32 v3, v6
	global_store_dwordx2 v[0:1], v[14:15], off
	v_lshlrev_b64 v[0:1], 3, v[2:3]
	v_mov_b32_e32 v2, v8
	v_mad_u64_u32 v[2:3], s[0:1], s3, v9, v[2:3]
	v_add_u32_e32 v6, 0x37b, v24
	v_add_co_u32_e32 v0, vcc, v29, v0
	v_mov_b32_e32 v8, v2
	v_mad_u64_u32 v[2:3], s[0:1], s2, v6, 0
	v_addc_co_u32_e32 v1, vcc, v30, v1, vcc
	global_store_dwordx2 v[0:1], v[16:17], off
	v_lshlrev_b64 v[0:1], 3, v[7:8]
	v_mad_u64_u32 v[6:7], s[0:1], s3, v6, v[3:4]
	v_add_u32_e32 v9, 0x3de, v24
	v_mad_u64_u32 v[7:8], s[0:1], s2, v9, 0
	v_add_co_u32_e32 v0, vcc, v29, v0
	v_addc_co_u32_e32 v1, vcc, v30, v1, vcc
	v_mov_b32_e32 v3, v6
	global_store_dwordx2 v[0:1], v[18:19], off
	v_lshlrev_b64 v[0:1], 3, v[2:3]
	v_mov_b32_e32 v2, v8
	v_mad_u64_u32 v[2:3], s[0:1], s3, v9, v[2:3]
	v_add_co_u32_e32 v0, vcc, v29, v0
	v_addc_co_u32_e32 v1, vcc, v30, v1, vcc
	v_mov_b32_e32 v8, v2
	global_store_dwordx2 v[0:1], v[22:23], off
	v_lshlrev_b64 v[0:1], 3, v[7:8]
	v_add_co_u32_e32 v0, vcc, v29, v0
	v_addc_co_u32_e32 v1, vcc, v30, v1, vcc
	global_store_dwordx2 v[0:1], v[4:5], off
	s_endpgm
	.section	.rodata,"a",@progbits
	.p2align	6, 0x0
	.amdhsa_kernel fft_rtc_back_len1089_factors_3_11_3_11_wgs_121_tpt_121_sp_ip_CI_sbrr_dirReg
		.amdhsa_group_segment_fixed_size 0
		.amdhsa_private_segment_fixed_size 0
		.amdhsa_kernarg_size 88
		.amdhsa_user_sgpr_count 6
		.amdhsa_user_sgpr_private_segment_buffer 1
		.amdhsa_user_sgpr_dispatch_ptr 0
		.amdhsa_user_sgpr_queue_ptr 0
		.amdhsa_user_sgpr_kernarg_segment_ptr 1
		.amdhsa_user_sgpr_dispatch_id 0
		.amdhsa_user_sgpr_flat_scratch_init 0
		.amdhsa_user_sgpr_private_segment_size 0
		.amdhsa_uses_dynamic_stack 0
		.amdhsa_system_sgpr_private_segment_wavefront_offset 0
		.amdhsa_system_sgpr_workgroup_id_x 1
		.amdhsa_system_sgpr_workgroup_id_y 0
		.amdhsa_system_sgpr_workgroup_id_z 0
		.amdhsa_system_sgpr_workgroup_info 0
		.amdhsa_system_vgpr_workitem_id 0
		.amdhsa_next_free_vgpr 101
		.amdhsa_next_free_sgpr 24
		.amdhsa_reserve_vcc 1
		.amdhsa_reserve_flat_scratch 0
		.amdhsa_float_round_mode_32 0
		.amdhsa_float_round_mode_16_64 0
		.amdhsa_float_denorm_mode_32 3
		.amdhsa_float_denorm_mode_16_64 3
		.amdhsa_dx10_clamp 1
		.amdhsa_ieee_mode 1
		.amdhsa_fp16_overflow 0
		.amdhsa_exception_fp_ieee_invalid_op 0
		.amdhsa_exception_fp_denorm_src 0
		.amdhsa_exception_fp_ieee_div_zero 0
		.amdhsa_exception_fp_ieee_overflow 0
		.amdhsa_exception_fp_ieee_underflow 0
		.amdhsa_exception_fp_ieee_inexact 0
		.amdhsa_exception_int_div_zero 0
	.end_amdhsa_kernel
	.text
.Lfunc_end0:
	.size	fft_rtc_back_len1089_factors_3_11_3_11_wgs_121_tpt_121_sp_ip_CI_sbrr_dirReg, .Lfunc_end0-fft_rtc_back_len1089_factors_3_11_3_11_wgs_121_tpt_121_sp_ip_CI_sbrr_dirReg
                                        ; -- End function
	.section	.AMDGPU.csdata,"",@progbits
; Kernel info:
; codeLenInByte = 8276
; NumSgprs: 28
; NumVgprs: 101
; ScratchSize: 0
; MemoryBound: 0
; FloatMode: 240
; IeeeMode: 1
; LDSByteSize: 0 bytes/workgroup (compile time only)
; SGPRBlocks: 3
; VGPRBlocks: 25
; NumSGPRsForWavesPerEU: 28
; NumVGPRsForWavesPerEU: 101
; Occupancy: 2
; WaveLimiterHint : 1
; COMPUTE_PGM_RSRC2:SCRATCH_EN: 0
; COMPUTE_PGM_RSRC2:USER_SGPR: 6
; COMPUTE_PGM_RSRC2:TRAP_HANDLER: 0
; COMPUTE_PGM_RSRC2:TGID_X_EN: 1
; COMPUTE_PGM_RSRC2:TGID_Y_EN: 0
; COMPUTE_PGM_RSRC2:TGID_Z_EN: 0
; COMPUTE_PGM_RSRC2:TIDIG_COMP_CNT: 0
	.type	__hip_cuid_9f45e706f9caf372,@object ; @__hip_cuid_9f45e706f9caf372
	.section	.bss,"aw",@nobits
	.globl	__hip_cuid_9f45e706f9caf372
__hip_cuid_9f45e706f9caf372:
	.byte	0                               ; 0x0
	.size	__hip_cuid_9f45e706f9caf372, 1

	.ident	"AMD clang version 19.0.0git (https://github.com/RadeonOpenCompute/llvm-project roc-6.4.0 25133 c7fe45cf4b819c5991fe208aaa96edf142730f1d)"
	.section	".note.GNU-stack","",@progbits
	.addrsig
	.addrsig_sym __hip_cuid_9f45e706f9caf372
	.amdgpu_metadata
---
amdhsa.kernels:
  - .args:
      - .actual_access:  read_only
        .address_space:  global
        .offset:         0
        .size:           8
        .value_kind:     global_buffer
      - .offset:         8
        .size:           8
        .value_kind:     by_value
      - .actual_access:  read_only
        .address_space:  global
        .offset:         16
        .size:           8
        .value_kind:     global_buffer
      - .actual_access:  read_only
        .address_space:  global
        .offset:         24
        .size:           8
        .value_kind:     global_buffer
      - .offset:         32
        .size:           8
        .value_kind:     by_value
      - .actual_access:  read_only
        .address_space:  global
        .offset:         40
        .size:           8
        .value_kind:     global_buffer
      - .actual_access:  read_only
        .address_space:  global
        .offset:         48
        .size:           8
        .value_kind:     global_buffer
      - .offset:         56
        .size:           4
        .value_kind:     by_value
      - .actual_access:  read_only
        .address_space:  global
        .offset:         64
        .size:           8
        .value_kind:     global_buffer
      - .actual_access:  read_only
        .address_space:  global
        .offset:         72
        .size:           8
        .value_kind:     global_buffer
      - .address_space:  global
        .offset:         80
        .size:           8
        .value_kind:     global_buffer
    .group_segment_fixed_size: 0
    .kernarg_segment_align: 8
    .kernarg_segment_size: 88
    .language:       OpenCL C
    .language_version:
      - 2
      - 0
    .max_flat_workgroup_size: 121
    .name:           fft_rtc_back_len1089_factors_3_11_3_11_wgs_121_tpt_121_sp_ip_CI_sbrr_dirReg
    .private_segment_fixed_size: 0
    .sgpr_count:     28
    .sgpr_spill_count: 0
    .symbol:         fft_rtc_back_len1089_factors_3_11_3_11_wgs_121_tpt_121_sp_ip_CI_sbrr_dirReg.kd
    .uniform_work_group_size: 1
    .uses_dynamic_stack: false
    .vgpr_count:     101
    .vgpr_spill_count: 0
    .wavefront_size: 64
amdhsa.target:   amdgcn-amd-amdhsa--gfx906
amdhsa.version:
  - 1
  - 2
...

	.end_amdgpu_metadata
